;; amdgpu-corpus repo=ROCm/HIPIFY kind=compiled arch=gfx1030 opt=O3
	.amdgcn_target "amdgcn-amd-amdhsa--gfx1030"
	.amdhsa_code_object_version 6
	.text
	.protected	_Z12computeJuliaPi15HIP_vector_typeIfLj2EEf ; -- Begin function _Z12computeJuliaPi15HIP_vector_typeIfLj2EEf
	.globl	_Z12computeJuliaPi15HIP_vector_typeIfLj2EEf
	.p2align	8
	.type	_Z12computeJuliaPi15HIP_vector_typeIfLj2EEf,@function
_Z12computeJuliaPi15HIP_vector_typeIfLj2EEf: ; @_Z12computeJuliaPi15HIP_vector_typeIfLj2EEf
; %bb.0:
	s_load_dword s0, s[4:5], 0x24
	s_waitcnt lgkmcnt(0)
	s_lshr_b32 s1, s0, 16
	s_and_b32 s0, s0, 0xffff
	v_mad_u64_u32 v[2:3], null, s6, s0, v[0:1]
	v_mad_u64_u32 v[0:1], null, s7, s1, v[1:2]
	v_cmp_gt_i32_e32 vcc_lo, 0x64, v2
	v_cmp_gt_i32_e64 s0, 40, v0
	s_and_b32 s0, vcc_lo, s0
	s_and_saveexec_b32 s1, s0
	s_cbranch_execz .LBB0_22
; %bb.1:
	s_load_dword s0, s[4:5], 0x10
	v_subrev_nc_u32_e32 v1, 50, v2
	s_mov_b32 s1, exec_lo
	v_cvt_f64_i32_e32 v[5:6], v1
	v_subrev_nc_u32_e32 v1, 20, v0
	v_cvt_f64_i32_e32 v[9:10], v1
	s_waitcnt lgkmcnt(0)
	v_cvt_f64_f32_e32 v[3:4], s0
	v_mul_f64 v[5:6], 0x3ff80000, v[5:6]
	v_mul_f64 v[3:4], v[3:4], 0.5
	v_mul_f64 v[7:8], 0x40590000, v[3:4]
	v_mul_f64 v[3:4], 0x40440000, v[3:4]
	v_div_scale_f64 v[11:12], null, v[7:8], v[7:8], v[5:6]
	v_div_scale_f64 v[13:14], null, v[3:4], v[3:4], v[9:10]
	v_div_scale_f64 v[23:24], vcc_lo, v[5:6], v[7:8], v[5:6]
	v_rcp_f64_e32 v[15:16], v[11:12]
	v_rcp_f64_e32 v[17:18], v[13:14]
	v_fma_f64 v[19:20], -v[11:12], v[15:16], 1.0
	v_fma_f64 v[21:22], -v[13:14], v[17:18], 1.0
	v_fma_f64 v[15:16], v[15:16], v[19:20], v[15:16]
	v_fma_f64 v[17:18], v[17:18], v[21:22], v[17:18]
	v_fma_f64 v[19:20], -v[11:12], v[15:16], 1.0
	v_fma_f64 v[21:22], -v[13:14], v[17:18], 1.0
	v_fma_f64 v[15:16], v[15:16], v[19:20], v[15:16]
	v_div_scale_f64 v[19:20], s0, v[9:10], v[3:4], v[9:10]
	v_fma_f64 v[17:18], v[17:18], v[21:22], v[17:18]
	v_mul_f64 v[21:22], v[23:24], v[15:16]
	v_mul_f64 v[25:26], v[19:20], v[17:18]
	v_fma_f64 v[11:12], -v[11:12], v[21:22], v[23:24]
	v_fma_f64 v[13:14], -v[13:14], v[25:26], v[19:20]
	v_div_fmas_f64 v[11:12], v[11:12], v[15:16], v[21:22]
	s_mov_b32 vcc_lo, s0
	v_div_fmas_f64 v[13:14], v[13:14], v[17:18], v[25:26]
	v_div_fixup_f64 v[5:6], v[11:12], v[7:8], v[5:6]
	v_div_fixup_f64 v[3:4], v[13:14], v[3:4], v[9:10]
	v_add_f64 v[5:6], v[5:6], 2.0
	v_add_f64 v[3:4], v[3:4], 1.0
	v_cvt_f32_f64_e32 v3, v[3:4]
	v_cvt_f32_f64_e32 v4, v[5:6]
	v_mul_f32_e32 v5, v3, v3
	v_fma_f32 v1, v4, v4, v5
	v_mul_f32_e32 v6, 0x4f800000, v1
	v_cmp_gt_f32_e32 vcc_lo, 0xf800000, v1
	v_cndmask_b32_e32 v1, v1, v6, vcc_lo
	v_sqrt_f32_e32 v6, v1
	v_add_nc_u32_e32 v7, -1, v6
	v_add_nc_u32_e32 v8, 1, v6
	v_fma_f32 v9, -v7, v6, v1
	v_fma_f32 v10, -v8, v6, v1
	v_cmp_ge_f32_e64 s0, 0, v9
	v_cndmask_b32_e64 v6, v6, v7, s0
	v_cmp_lt_f32_e64 s0, 0, v10
	v_cndmask_b32_e64 v6, v6, v8, s0
	v_mul_f32_e32 v7, 0x37800000, v6
	v_cndmask_b32_e32 v6, v6, v7, vcc_lo
	v_cmp_class_f32_e64 vcc_lo, v1, 0x260
	v_cndmask_b32_e32 v6, v6, v1, vcc_lo
	v_mov_b32_e32 v1, 1
	v_cmpx_ge_f32_e32 4.0, v6
	s_cbranch_execz .LBB0_21
; %bb.2:
	s_load_dwordx2 s[2:3], s[4:5], 0x8
	v_mul_f32_e32 v1, v4, v4
	v_mul_f32_e32 v4, v3, v4
	v_sub_f32_e32 v1, v1, v5
	s_waitcnt lgkmcnt(0)
	v_add_f32_e32 v3, s2, v1
	v_fma_f32 v4, v4, 2.0, s3
	v_mul_f32_e32 v5, v3, v3
	v_fma_f32 v1, v4, v4, v5
	v_mul_f32_e32 v6, 0x4f800000, v1
	v_cmp_gt_f32_e32 vcc_lo, 0xf800000, v1
	v_cndmask_b32_e32 v1, v1, v6, vcc_lo
	v_sqrt_f32_e32 v6, v1
	v_add_nc_u32_e32 v7, -1, v6
	v_add_nc_u32_e32 v8, 1, v6
	v_fma_f32 v9, -v7, v6, v1
	v_fma_f32 v10, -v8, v6, v1
	v_cmp_ge_f32_e64 s0, 0, v9
	v_cndmask_b32_e64 v6, v6, v7, s0
	v_cmp_lt_f32_e64 s0, 0, v10
	v_cndmask_b32_e64 v6, v6, v8, s0
	v_mul_f32_e32 v7, 0x37800000, v6
	v_cndmask_b32_e32 v6, v6, v7, vcc_lo
	v_cmp_class_f32_e64 vcc_lo, v1, 0x260
	v_cndmask_b32_e32 v1, v6, v1, vcc_lo
	v_cmp_ge_f32_e32 vcc_lo, 4.0, v1
	v_mov_b32_e32 v1, 2
	s_and_saveexec_b32 s6, vcc_lo
	s_cbranch_execz .LBB0_20
; %bb.3:
	v_mul_f32_e32 v1, v4, v4
	v_mul_f32_e32 v3, v4, v3
	v_sub_f32_e32 v1, v5, v1
	v_fma_f32 v3, v3, 2.0, s3
	v_add_f32_e32 v4, s2, v1
	v_mul_f32_e32 v5, v3, v3
	v_fma_f32 v1, v4, v4, v5
	v_mul_f32_e32 v6, 0x4f800000, v1
	v_cmp_gt_f32_e32 vcc_lo, 0xf800000, v1
	v_cndmask_b32_e32 v1, v1, v6, vcc_lo
	v_sqrt_f32_e32 v6, v1
	v_add_nc_u32_e32 v7, -1, v6
	v_add_nc_u32_e32 v8, 1, v6
	v_fma_f32 v9, -v7, v6, v1
	v_fma_f32 v10, -v8, v6, v1
	v_cmp_ge_f32_e64 s0, 0, v9
	v_cndmask_b32_e64 v6, v6, v7, s0
	v_cmp_lt_f32_e64 s0, 0, v10
	v_cndmask_b32_e64 v6, v6, v8, s0
	v_mul_f32_e32 v7, 0x37800000, v6
	v_cndmask_b32_e32 v6, v6, v7, vcc_lo
	v_cmp_class_f32_e64 vcc_lo, v1, 0x260
	v_cndmask_b32_e32 v1, v6, v1, vcc_lo
	v_cmp_ge_f32_e32 vcc_lo, 4.0, v1
	v_mov_b32_e32 v1, 3
	s_and_saveexec_b32 s7, vcc_lo
	s_cbranch_execz .LBB0_19
; %bb.4:
	v_mul_f32_e32 v1, v4, v4
	v_mul_f32_e32 v3, v3, v4
	v_sub_f32_e32 v1, v1, v5
	v_fma_f32 v3, v3, 2.0, s3
	v_add_f32_e32 v4, s2, v1
	;; [unrolled: 28-line block ×8, first 2 shown]
	v_mul_f32_e32 v3, v3, v3
	v_fmac_f32_e32 v3, v1, v1
	v_mul_f32_e32 v1, 0x4f800000, v3
	v_cmp_gt_f32_e32 vcc_lo, 0xf800000, v3
	v_cndmask_b32_e32 v1, v3, v1, vcc_lo
	v_sqrt_f32_e32 v3, v1
	v_add_nc_u32_e32 v4, -1, v3
	v_add_nc_u32_e32 v5, 1, v3
	v_fma_f32 v6, -v4, v3, v1
	v_fma_f32 v7, -v5, v3, v1
	v_cmp_ge_f32_e64 s0, 0, v6
	v_cndmask_b32_e64 v3, v3, v4, s0
	v_cmp_lt_f32_e64 s0, 0, v7
	v_cndmask_b32_e64 v3, v3, v5, s0
	v_mul_f32_e32 v4, 0x37800000, v3
	v_cndmask_b32_e32 v3, v3, v4, vcc_lo
	v_cmp_class_f32_e64 vcc_lo, v1, 0x260
	v_cndmask_b32_e32 v1, v3, v1, vcc_lo
	v_cmp_ge_f32_e32 vcc_lo, 4.0, v1
	v_mov_b32_e32 v1, 10
	s_and_saveexec_b32 s0, vcc_lo
; %bb.11:
	v_mov_b32_e32 v1, 11
; %bb.12:
	s_or_b32 exec_lo, exec_lo, s0
.LBB0_13:
	s_or_b32 exec_lo, exec_lo, s13
.LBB0_14:
	s_or_b32 exec_lo, exec_lo, s12
.LBB0_15:
	s_or_b32 exec_lo, exec_lo, s11
.LBB0_16:
	s_or_b32 exec_lo, exec_lo, s10
.LBB0_17:
	s_or_b32 exec_lo, exec_lo, s9
.LBB0_18:
	s_or_b32 exec_lo, exec_lo, s8
.LBB0_19:
	s_or_b32 exec_lo, exec_lo, s7
.LBB0_20:
	s_or_b32 exec_lo, exec_lo, s6
.LBB0_21:
	s_or_b32 exec_lo, exec_lo, s1
	s_load_dwordx2 s[0:1], s[4:5], 0x0
	v_mad_u64_u32 v[2:3], null, v2, 40, v[0:1]
	v_ashrrev_i32_e32 v3, 31, v2
	v_lshlrev_b64 v[2:3], 2, v[2:3]
	s_waitcnt lgkmcnt(0)
	v_add_co_u32 v2, vcc_lo, s0, v2
	v_add_co_ci_u32_e64 v3, null, s1, v3, vcc_lo
	global_store_dword v[2:3], v1, off
.LBB0_22:
	s_endpgm
	.section	.rodata,"a",@progbits
	.p2align	6, 0x0
	.amdhsa_kernel _Z12computeJuliaPi15HIP_vector_typeIfLj2EEf
		.amdhsa_group_segment_fixed_size 0
		.amdhsa_private_segment_fixed_size 0
		.amdhsa_kernarg_size 280
		.amdhsa_user_sgpr_count 6
		.amdhsa_user_sgpr_private_segment_buffer 1
		.amdhsa_user_sgpr_dispatch_ptr 0
		.amdhsa_user_sgpr_queue_ptr 0
		.amdhsa_user_sgpr_kernarg_segment_ptr 1
		.amdhsa_user_sgpr_dispatch_id 0
		.amdhsa_user_sgpr_flat_scratch_init 0
		.amdhsa_user_sgpr_private_segment_size 0
		.amdhsa_wavefront_size32 1
		.amdhsa_uses_dynamic_stack 0
		.amdhsa_system_sgpr_private_segment_wavefront_offset 0
		.amdhsa_system_sgpr_workgroup_id_x 1
		.amdhsa_system_sgpr_workgroup_id_y 1
		.amdhsa_system_sgpr_workgroup_id_z 0
		.amdhsa_system_sgpr_workgroup_info 0
		.amdhsa_system_vgpr_workitem_id 1
		.amdhsa_next_free_vgpr 27
		.amdhsa_next_free_sgpr 14
		.amdhsa_reserve_vcc 1
		.amdhsa_reserve_flat_scratch 0
		.amdhsa_float_round_mode_32 0
		.amdhsa_float_round_mode_16_64 0
		.amdhsa_float_denorm_mode_32 3
		.amdhsa_float_denorm_mode_16_64 3
		.amdhsa_dx10_clamp 1
		.amdhsa_ieee_mode 1
		.amdhsa_fp16_overflow 0
		.amdhsa_workgroup_processor_mode 1
		.amdhsa_memory_ordered 1
		.amdhsa_forward_progress 1
		.amdhsa_shared_vgpr_count 0
		.amdhsa_exception_fp_ieee_invalid_op 0
		.amdhsa_exception_fp_denorm_src 0
		.amdhsa_exception_fp_ieee_div_zero 0
		.amdhsa_exception_fp_ieee_overflow 0
		.amdhsa_exception_fp_ieee_underflow 0
		.amdhsa_exception_fp_ieee_inexact 0
		.amdhsa_exception_int_div_zero 0
	.end_amdhsa_kernel
	.text
.Lfunc_end0:
	.size	_Z12computeJuliaPi15HIP_vector_typeIfLj2EEf, .Lfunc_end0-_Z12computeJuliaPi15HIP_vector_typeIfLj2EEf
                                        ; -- End function
	.set _Z12computeJuliaPi15HIP_vector_typeIfLj2EEf.num_vgpr, 27
	.set _Z12computeJuliaPi15HIP_vector_typeIfLj2EEf.num_agpr, 0
	.set _Z12computeJuliaPi15HIP_vector_typeIfLj2EEf.numbered_sgpr, 14
	.set _Z12computeJuliaPi15HIP_vector_typeIfLj2EEf.num_named_barrier, 0
	.set _Z12computeJuliaPi15HIP_vector_typeIfLj2EEf.private_seg_size, 0
	.set _Z12computeJuliaPi15HIP_vector_typeIfLj2EEf.uses_vcc, 1
	.set _Z12computeJuliaPi15HIP_vector_typeIfLj2EEf.uses_flat_scratch, 0
	.set _Z12computeJuliaPi15HIP_vector_typeIfLj2EEf.has_dyn_sized_stack, 0
	.set _Z12computeJuliaPi15HIP_vector_typeIfLj2EEf.has_recursion, 0
	.set _Z12computeJuliaPi15HIP_vector_typeIfLj2EEf.has_indirect_call, 0
	.section	.AMDGPU.csdata,"",@progbits
; Kernel info:
; codeLenInByte = 2024
; TotalNumSgprs: 16
; NumVgprs: 27
; ScratchSize: 0
; MemoryBound: 0
; FloatMode: 240
; IeeeMode: 1
; LDSByteSize: 0 bytes/workgroup (compile time only)
; SGPRBlocks: 0
; VGPRBlocks: 3
; NumSGPRsForWavesPerEU: 16
; NumVGPRsForWavesPerEU: 27
; Occupancy: 16
; WaveLimiterHint : 0
; COMPUTE_PGM_RSRC2:SCRATCH_EN: 0
; COMPUTE_PGM_RSRC2:USER_SGPR: 6
; COMPUTE_PGM_RSRC2:TRAP_HANDLER: 0
; COMPUTE_PGM_RSRC2:TGID_X_EN: 1
; COMPUTE_PGM_RSRC2:TGID_Y_EN: 1
; COMPUTE_PGM_RSRC2:TGID_Z_EN: 0
; COMPUTE_PGM_RSRC2:TIDIG_COMP_CNT: 1
	.text
	.p2alignl 6, 3214868480
	.fill 48, 4, 3214868480
	.section	.AMDGPU.gpr_maximums,"",@progbits
	.set amdgpu.max_num_vgpr, 0
	.set amdgpu.max_num_agpr, 0
	.set amdgpu.max_num_sgpr, 0
	.text
	.type	__hip_cuid_802a3cfc30e42f71,@object ; @__hip_cuid_802a3cfc30e42f71
	.section	.bss,"aw",@nobits
	.globl	__hip_cuid_802a3cfc30e42f71
__hip_cuid_802a3cfc30e42f71:
	.byte	0                               ; 0x0
	.size	__hip_cuid_802a3cfc30e42f71, 1

	.ident	"AMD clang version 22.0.0git (https://github.com/RadeonOpenCompute/llvm-project roc-7.2.4 26084 f58b06dce1f9c15707c5f808fd002e18c2accf7e)"
	.section	".note.GNU-stack","",@progbits
	.addrsig
	.addrsig_sym __hip_cuid_802a3cfc30e42f71
	.amdgpu_metadata
---
amdhsa.kernels:
  - .args:
      - .address_space:  global
        .offset:         0
        .size:           8
        .value_kind:     global_buffer
      - .offset:         8
        .size:           8
        .value_kind:     by_value
      - .offset:         16
        .size:           4
        .value_kind:     by_value
      - .offset:         24
        .size:           4
        .value_kind:     hidden_block_count_x
      - .offset:         28
        .size:           4
        .value_kind:     hidden_block_count_y
      - .offset:         32
        .size:           4
        .value_kind:     hidden_block_count_z
      - .offset:         36
        .size:           2
        .value_kind:     hidden_group_size_x
      - .offset:         38
        .size:           2
        .value_kind:     hidden_group_size_y
      - .offset:         40
        .size:           2
        .value_kind:     hidden_group_size_z
      - .offset:         42
        .size:           2
        .value_kind:     hidden_remainder_x
      - .offset:         44
        .size:           2
        .value_kind:     hidden_remainder_y
      - .offset:         46
        .size:           2
        .value_kind:     hidden_remainder_z
      - .offset:         64
        .size:           8
        .value_kind:     hidden_global_offset_x
      - .offset:         72
        .size:           8
        .value_kind:     hidden_global_offset_y
      - .offset:         80
        .size:           8
        .value_kind:     hidden_global_offset_z
      - .offset:         88
        .size:           2
        .value_kind:     hidden_grid_dims
    .group_segment_fixed_size: 0
    .kernarg_segment_align: 8
    .kernarg_segment_size: 280
    .language:       OpenCL C
    .language_version:
      - 2
      - 0
    .max_flat_workgroup_size: 1024
    .name:           _Z12computeJuliaPi15HIP_vector_typeIfLj2EEf
    .private_segment_fixed_size: 0
    .sgpr_count:     16
    .sgpr_spill_count: 0
    .symbol:         _Z12computeJuliaPi15HIP_vector_typeIfLj2EEf.kd
    .uniform_work_group_size: 1
    .uses_dynamic_stack: false
    .vgpr_count:     27
    .vgpr_spill_count: 0
    .wavefront_size: 32
    .workgroup_processor_mode: 1
amdhsa.target:   amdgcn-amd-amdhsa--gfx1030
amdhsa.version:
  - 1
  - 2
...

	.end_amdgpu_metadata
